;; amdgpu-corpus repo=ROCm/rocFFT kind=compiled arch=gfx950 opt=O3
	.text
	.amdgcn_target "amdgcn-amd-amdhsa--gfx950"
	.amdhsa_code_object_version 6
	.protected	fft_rtc_back_len17_factors_17_wgs_120_tpt_1_sp_op_CI_CI_sbrc_xy_z_aligned ; -- Begin function fft_rtc_back_len17_factors_17_wgs_120_tpt_1_sp_op_CI_CI_sbrc_xy_z_aligned
	.globl	fft_rtc_back_len17_factors_17_wgs_120_tpt_1_sp_op_CI_CI_sbrc_xy_z_aligned
	.p2align	8
	.type	fft_rtc_back_len17_factors_17_wgs_120_tpt_1_sp_op_CI_CI_sbrc_xy_z_aligned,@function
fft_rtc_back_len17_factors_17_wgs_120_tpt_1_sp_op_CI_CI_sbrc_xy_z_aligned: ; @fft_rtc_back_len17_factors_17_wgs_120_tpt_1_sp_op_CI_CI_sbrc_xy_z_aligned
; %bb.0:
	s_load_dwordx4 s[12:15], s[0:1], 0x10
	s_load_dwordx2 s[22:23], s[0:1], 0x20
	s_load_dwordx2 s[24:25], s[0:1], 0x58
	s_mov_b32 s3, 0
	s_waitcnt lgkmcnt(0)
	s_load_dwordx4 s[16:19], s[12:13], 0x8
	s_load_dwordx4 s[8:11], s[14:15], 0x0
	s_mov_b32 s13, s3
	s_waitcnt lgkmcnt(0)
	s_add_i32 s4, s18, -1
	s_mul_hi_u32 s4, s4, 0x88888889
	s_lshr_b32 s4, s4, 6
	s_add_i32 s4, s4, 1
	s_mul_i32 s12, s4, s16
	v_cvt_f32_u32_e32 v1, s12
	s_load_dwordx2 s[20:21], s[14:15], 0x10
	s_load_dwordx4 s[4:7], s[22:23], 0x0
	s_load_dwordx2 s[18:19], s[22:23], 0x10
	s_waitcnt lgkmcnt(0)
	s_sub_i32 s7, 0, s12
	v_mov_b64_e32 v[2:3], s[16:17]
	v_rcp_iflag_f32_e32 v1, v1
	s_nop 0
	v_mul_f32_e32 v1, 0x4f7ffffe, v1
	v_cvt_u32_f32_e32 v4, v1
	v_cvt_f32_u32_e32 v1, s16
	v_readfirstlane_b32 s11, v4
	s_mul_i32 s7, s7, s11
	s_mul_hi_u32 s7, s11, s7
	s_add_i32 s11, s11, s7
	s_mul_hi_u32 s7, s2, s11
	s_mul_i32 s11, s7, s12
	s_sub_i32 s11, s2, s11
	s_add_i32 s19, s7, 1
	s_sub_i32 s21, s11, s12
	s_cmp_ge_u32 s11, s12
	s_cselect_b32 s7, s19, s7
	s_cselect_b32 s11, s21, s11
	s_add_i32 s19, s7, 1
	s_cmp_ge_u32 s11, s12
	s_cselect_b32 s7, s19, s7
	s_mul_i32 s11, s7, s12
	s_sub_i32 s12, s2, s11
	v_cmp_lt_u64_e32 vcc, s[12:13], v[2:3]
	v_mov_b64_e32 v[2:3], 0
	s_cbranch_vccnz .LBB0_2
; %bb.1:
	v_rcp_iflag_f32_e32 v2, v1
	s_sub_i32 s11, 0, s16
	v_mul_f32_e32 v2, 0x4f7ffffe, v2
	v_cvt_u32_f32_e32 v2, v2
	v_mul_lo_u32 v3, s11, v2
	v_mul_hi_u32 v3, v2, v3
	v_add_u32_e32 v2, v2, v3
	v_mul_hi_u32 v2, s12, v2
	v_mul_lo_u32 v4, v2, s16
	v_sub_u32_e32 v4, s12, v4
	v_add_u32_e32 v3, 1, v2
	v_subrev_u32_e32 v5, s16, v4
	v_cmp_le_u32_e32 vcc, s16, v4
	s_nop 1
	v_cndmask_b32_e32 v4, v4, v5, vcc
	v_cndmask_b32_e32 v2, v2, v3, vcc
	v_add_u32_e32 v3, 1, v2
	v_cmp_le_u32_e32 vcc, s16, v4
	s_nop 1
	v_cndmask_b32_e32 v2, v2, v3, vcc
.LBB0_2:
	s_load_dwordx2 s[12:13], s[0:1], 0x60
	v_mov_b64_e32 v[4:5], s[16:17]
	v_cmp_lt_u64_e32 vcc, s[2:3], v[4:5]
	v_mov_b64_e32 v[4:5], s[2:3]
	s_cbranch_vccnz .LBB0_4
; %bb.3:
	v_rcp_iflag_f32_e32 v1, v1
	s_sub_i32 s3, 0, s16
	v_mul_f32_e32 v1, 0x4f7ffffe, v1
	v_cvt_u32_f32_e32 v1, v1
	v_mul_lo_u32 v3, s3, v1
	v_mul_hi_u32 v3, v1, v3
	v_add_u32_e32 v1, v1, v3
	v_mul_hi_u32 v1, s2, v1
	v_mul_lo_u32 v1, v1, s16
	v_sub_u32_e32 v1, s2, v1
	v_subrev_u32_e32 v3, s16, v1
	v_cmp_le_u32_e32 vcc, s16, v1
	s_nop 1
	v_cndmask_b32_e32 v1, v1, v3, vcc
	v_subrev_u32_e32 v3, s16, v1
	v_cmp_le_u32_e32 vcc, s16, v1
	s_nop 1
	v_cndmask_b32_e32 v4, v1, v3, vcc
.LBB0_4:
	s_load_dwordx2 s[0:1], s[0:1], 0x8
	v_mul_lo_u32 v3, v4, s10
	s_movk_i32 s2, 0x78
	v_accvgpr_write_b32 a0, v4
	v_mul_u32_u24_e32 v4, 0xf10, v0
	s_waitcnt lgkmcnt(0)
	s_lshl_b64 s[0:1], s[0:1], 3
	s_add_u32 s10, s14, s0
	s_addc_u32 s11, s15, s1
	s_load_dwordx2 s[10:11], s[10:11], 0x0
	v_mul_lo_u32 v1, v2, s2
	v_lshrrev_b32_e32 v8, 16, v4
	v_mul_lo_u32 v2, v1, s20
	v_mul_lo_u16_e32 v4, 17, v8
	s_waitcnt lgkmcnt(0)
	s_mul_i32 s3, s11, s7
	s_mul_hi_u32 s11, s10, s7
	s_add_i32 s11, s11, s3
	s_add_u32 s0, s22, s0
	s_addc_u32 s1, s23, s1
	s_load_dwordx2 s[0:1], s[0:1], 0x0
	v_add_u32_e32 v6, v3, v2
	v_sub_u16_e32 v3, v0, v4
	s_mul_i32 s10, s10, s7
	v_mad_u64_u32 v[4:5], s[14:15], s8, v3, 0
	s_waitcnt lgkmcnt(0)
	s_mul_i32 s1, s1, s7
	s_mul_hi_u32 s3, s0, s7
	s_add_i32 s1, s3, s1
	v_mov_b32_e32 v2, v5
	s_lshl_b64 s[10:11], s[10:11], 3
	v_mov_b32_e32 v7, 0
	v_mad_u64_u32 v[2:3], s[14:15], s9, v3, v[2:3]
	s_add_u32 s10, s24, s10
	v_mov_b32_e32 v5, v2
	s_addc_u32 s11, s25, s11
	v_lshlrev_b64 v[2:3], 3, v[6:7]
	v_lshl_add_u64 v[2:3], s[10:11], 0, v[2:3]
	v_mul_lo_u32 v10, s20, v8
	v_mov_b32_e32 v11, v7
	v_lshl_add_u64 v[4:5], v[4:5], 3, v[2:3]
	v_lshl_add_u64 v[16:17], v[10:11], 3, v[4:5]
	v_add_u32_e32 v4, 0x78, v0
	v_mul_u32_u24_e32 v5, 0xf10, v4
	v_lshrrev_b32_e32 v8, 16, v5
	v_mul_lo_u16_e32 v5, 17, v8
	v_sub_u16_e32 v9, v4, v5
	v_mad_u64_u32 v[4:5], s[10:11], s8, v9, 0
	v_mov_b32_e32 v6, v5
	v_mad_u64_u32 v[10:11], s[10:11], s9, v9, v[6:7]
	v_mov_b32_e32 v5, v10
	v_mul_lo_u32 v6, s20, v8
	v_lshl_add_u64 v[4:5], v[4:5], 3, v[2:3]
	v_lshl_add_u64 v[18:19], v[6:7], 3, v[4:5]
	v_add_u32_e32 v4, 0xf0, v0
	v_mul_u32_u24_e32 v5, 0xf10, v4
	v_lshrrev_b32_e32 v8, 16, v5
	v_mul_lo_u16_e32 v5, 17, v8
	v_sub_u16_e32 v9, v4, v5
	v_mad_u64_u32 v[4:5], s[10:11], s8, v9, 0
	v_mov_b32_e32 v6, v5
	v_mad_u64_u32 v[10:11], s[10:11], s9, v9, v[6:7]
	v_mov_b32_e32 v5, v10
	v_mul_lo_u32 v6, s20, v8
	v_lshl_add_u64 v[4:5], v[4:5], 3, v[2:3]
	v_lshl_add_u64 v[20:21], v[6:7], 3, v[4:5]
	v_add_u32_e32 v4, 0x168, v0
	v_mul_u32_u24_e32 v5, 0xf10, v4
	v_lshrrev_b32_e32 v8, 16, v5
	v_mul_lo_u16_e32 v5, 17, v8
	v_sub_u16_e32 v9, v4, v5
	v_mad_u64_u32 v[4:5], s[10:11], s8, v9, 0
	v_mov_b32_e32 v6, v5
	v_mad_u64_u32 v[10:11], s[10:11], s9, v9, v[6:7]
	v_mov_b32_e32 v5, v10
	v_mul_lo_u32 v6, s20, v8
	v_lshl_add_u64 v[4:5], v[4:5], 3, v[2:3]
	v_lshl_add_u64 v[22:23], v[6:7], 3, v[4:5]
	v_add_u32_e32 v6, 0x1e0, v0
	v_mul_u32_u24_e32 v8, 0xf10, v6
	v_lshrrev_b32_e32 v8, 16, v8
	v_mul_lo_u16_e32 v9, 17, v8
	v_sub_u16_e32 v9, v6, v9
	global_load_dwordx2 v[4:5], v[16:17], off
	global_load_dwordx2 v[12:13], v[18:19], off
	global_load_dwordx2 v[10:11], v[20:21], off
	global_load_dwordx2 v[14:15], v[22:23], off
	v_mad_u64_u32 v[16:17], s[10:11], s8, v9, 0
	v_mov_b32_e32 v6, v17
	v_mad_u64_u32 v[18:19], s[10:11], s9, v9, v[6:7]
	v_mov_b32_e32 v17, v18
	v_mul_lo_u32 v6, s20, v8
	v_lshl_add_u64 v[16:17], v[16:17], 3, v[2:3]
	v_lshl_add_u64 v[16:17], v[6:7], 3, v[16:17]
	v_add_u32_e32 v6, 0x258, v0
	v_mul_u32_u24_e32 v8, 0xf10, v6
	v_lshrrev_b32_e32 v8, 16, v8
	v_mul_lo_u16_e32 v9, 17, v8
	v_sub_u16_e32 v9, v6, v9
	v_mad_u64_u32 v[18:19], s[10:11], s8, v9, 0
	v_mov_b32_e32 v6, v19
	v_mad_u64_u32 v[20:21], s[10:11], s9, v9, v[6:7]
	v_mov_b32_e32 v19, v20
	v_mul_lo_u32 v6, s20, v8
	v_lshl_add_u64 v[18:19], v[18:19], 3, v[2:3]
	v_lshl_add_u64 v[18:19], v[6:7], 3, v[18:19]
	v_add_u32_e32 v6, 0x2d0, v0
	v_mul_u32_u24_e32 v8, 0xf10, v6
	v_lshrrev_b32_e32 v8, 16, v8
	v_mul_lo_u16_e32 v9, 17, v8
	v_sub_u16_e32 v9, v6, v9
	v_mad_u64_u32 v[20:21], s[10:11], s8, v9, 0
	v_mov_b32_e32 v6, v21
	v_mad_u64_u32 v[22:23], s[10:11], s9, v9, v[6:7]
	v_mov_b32_e32 v21, v22
	v_mul_lo_u32 v6, s20, v8
	v_lshl_add_u64 v[20:21], v[20:21], 3, v[2:3]
	v_lshl_add_u64 v[20:21], v[6:7], 3, v[20:21]
	v_add_u32_e32 v6, 0x348, v0
	v_mul_u32_u24_e32 v8, 0xf10, v6
	v_lshrrev_b32_e32 v8, 16, v8
	v_mul_lo_u16_e32 v9, 17, v8
	v_sub_u16_e32 v9, v6, v9
	v_mad_u64_u32 v[22:23], s[10:11], s8, v9, 0
	v_mov_b32_e32 v6, v23
	v_mad_u64_u32 v[24:25], s[10:11], s9, v9, v[6:7]
	v_mov_b32_e32 v23, v24
	v_mul_lo_u32 v6, s20, v8
	v_lshl_add_u64 v[22:23], v[22:23], 3, v[2:3]
	v_lshl_add_u64 v[22:23], v[6:7], 3, v[22:23]
	v_add_u32_e32 v6, 0x3c0, v0
	v_mul_u32_u24_e32 v8, 0xf10, v6
	v_lshrrev_b32_e32 v8, 16, v8
	v_mul_lo_u16_e32 v9, 17, v8
	v_sub_u16_e32 v9, v6, v9
	global_load_dwordx2 v[24:25], v[16:17], off
	global_load_dwordx2 v[26:27], v[18:19], off
	global_load_dwordx2 v[28:29], v[20:21], off
	global_load_dwordx2 v[30:31], v[22:23], off
	v_mad_u64_u32 v[16:17], s[10:11], s8, v9, 0
	v_mov_b32_e32 v6, v17
	v_mad_u64_u32 v[18:19], s[10:11], s9, v9, v[6:7]
	v_mov_b32_e32 v17, v18
	v_mul_lo_u32 v6, s20, v8
	v_lshl_add_u64 v[16:17], v[16:17], 3, v[2:3]
	v_lshl_add_u64 v[16:17], v[6:7], 3, v[16:17]
	v_add_u32_e32 v6, 0x438, v0
	v_mul_u32_u24_e32 v8, 0xf10, v6
	v_lshrrev_b32_e32 v8, 16, v8
	v_mul_lo_u16_e32 v9, 17, v8
	v_sub_u16_e32 v9, v6, v9
	v_mad_u64_u32 v[18:19], s[10:11], s8, v9, 0
	v_mov_b32_e32 v6, v19
	v_mad_u64_u32 v[20:21], s[10:11], s9, v9, v[6:7]
	v_mov_b32_e32 v19, v20
	v_mul_lo_u32 v6, s20, v8
	v_lshl_add_u64 v[18:19], v[18:19], 3, v[2:3]
	v_lshl_add_u64 v[18:19], v[6:7], 3, v[18:19]
	v_add_u32_e32 v6, 0x4b0, v0
	v_mul_u32_u24_e32 v8, 0xf10, v6
	v_lshrrev_b32_e32 v8, 16, v8
	v_mul_lo_u16_e32 v9, 17, v8
	v_sub_u16_e32 v9, v6, v9
	v_mad_u64_u32 v[20:21], s[10:11], s8, v9, 0
	v_mov_b32_e32 v6, v21
	v_mad_u64_u32 v[22:23], s[10:11], s9, v9, v[6:7]
	v_mov_b32_e32 v21, v22
	v_mul_lo_u32 v6, s20, v8
	v_lshl_add_u64 v[20:21], v[20:21], 3, v[2:3]
	v_lshl_add_u64 v[20:21], v[6:7], 3, v[20:21]
	v_add_u32_e32 v6, 0x528, v0
	v_mul_u32_u24_e32 v8, 0xf10, v6
	v_lshrrev_b32_e32 v8, 16, v8
	v_mul_lo_u16_e32 v9, 17, v8
	v_sub_u16_e32 v9, v6, v9
	v_mad_u64_u32 v[22:23], s[10:11], s8, v9, 0
	v_mov_b32_e32 v6, v23
	v_mad_u64_u32 v[32:33], s[10:11], s9, v9, v[6:7]
	v_mov_b32_e32 v23, v32
	v_mul_lo_u32 v6, s20, v8
	v_lshl_add_u64 v[22:23], v[22:23], 3, v[2:3]
	v_lshl_add_u64 v[22:23], v[6:7], 3, v[22:23]
	v_add_u32_e32 v6, 0x5a0, v0
	v_mul_u32_u24_e32 v8, 0xf10, v6
	v_lshrrev_b32_e32 v8, 16, v8
	v_mul_lo_u16_e32 v9, 17, v8
	v_sub_u16_e32 v9, v6, v9
	global_load_dwordx2 v[32:33], v[16:17], off
	global_load_dwordx2 v[34:35], v[18:19], off
	global_load_dwordx2 v[36:37], v[20:21], off
	global_load_dwordx2 v[38:39], v[22:23], off
	v_mad_u64_u32 v[16:17], s[10:11], s8, v9, 0
	v_mov_b32_e32 v6, v17
	v_mad_u64_u32 v[18:19], s[10:11], s9, v9, v[6:7]
	v_mov_b32_e32 v17, v18
	v_mul_lo_u32 v6, s20, v8
	v_lshl_add_u64 v[16:17], v[16:17], 3, v[2:3]
	v_lshl_add_u64 v[16:17], v[6:7], 3, v[16:17]
	v_add_u32_e32 v6, 0x618, v0
	v_mul_u32_u24_e32 v8, 0xf10, v6
	v_lshrrev_b32_e32 v8, 16, v8
	v_mul_lo_u16_e32 v9, 17, v8
	v_sub_u16_e32 v9, v6, v9
	v_mad_u64_u32 v[18:19], s[10:11], s8, v9, 0
	v_mov_b32_e32 v6, v19
	v_mad_u64_u32 v[20:21], s[10:11], s9, v9, v[6:7]
	v_mov_b32_e32 v19, v20
	v_mul_lo_u32 v6, s20, v8
	v_lshl_add_u64 v[18:19], v[18:19], 3, v[2:3]
	v_lshl_add_u64 v[18:19], v[6:7], 3, v[18:19]
	v_add_u32_e32 v6, 0x690, v0
	v_mul_u32_u24_e32 v8, 0xf10, v6
	v_lshrrev_b32_e32 v8, 16, v8
	v_mul_lo_u16_e32 v9, 17, v8
	v_sub_u16_e32 v9, v6, v9
	v_mad_u64_u32 v[20:21], s[10:11], s8, v9, 0
	v_mov_b32_e32 v6, v21
	v_mad_u64_u32 v[22:23], s[10:11], s9, v9, v[6:7]
	v_mov_b32_e32 v21, v22
	v_mul_lo_u32 v6, s20, v8
	;; [unrolled: 12-line block ×3, first 2 shown]
	v_lshl_add_u64 v[22:23], v[22:23], 3, v[2:3]
	v_lshl_add_u64 v[22:23], v[6:7], 3, v[22:23]
	v_or_b32_e32 v6, 0x780, v0
	v_mul_u32_u24_e32 v8, 0xf10, v6
	v_lshrrev_b32_e32 v8, 16, v8
	v_mul_lo_u16_e32 v9, 17, v8
	v_sub_u16_e32 v9, v6, v9
	global_load_dwordx2 v[40:41], v[16:17], off
	global_load_dwordx2 v[42:43], v[18:19], off
	;; [unrolled: 1-line block ×4, first 2 shown]
	v_mad_u64_u32 v[16:17], s[10:11], s8, v9, 0
	v_mov_b32_e32 v6, v17
	v_mad_u64_u32 v[18:19], s[8:9], s9, v9, v[6:7]
	v_mov_b32_e32 v17, v18
	v_mul_lo_u32 v6, s20, v8
	v_lshl_add_u64 v[2:3], v[16:17], 3, v[2:3]
	v_lshl_add_u64 v[2:3], v[6:7], 3, v[2:3]
	global_load_dwordx2 v[2:3], v[2:3], off
	v_add_u32_e32 v6, v1, v0
	s_mov_b32 s3, 0x88888889
	v_mul_hi_u32 v8, v6, s3
	v_lshrrev_b32_e32 v8, 6, v8
	v_mul_lo_u32 v8, v8, s2
	v_sub_u32_e32 v6, v6, v8
	v_lshl_add_u32 v8, v0, 3, 0
	s_waitcnt vmcnt(15)
	ds_write2_b64 v8, v[4:5], v[12:13] offset1:120
	v_add_u32_e32 v4, 0x400, v8
	s_waitcnt vmcnt(13)
	ds_write2_b64 v4, v[10:11], v[14:15] offset0:112 offset1:232
	v_add_u32_e32 v4, 0xc00, v8
	s_waitcnt vmcnt(11)
	ds_write2_b64 v4, v[24:25], v[26:27] offset0:96 offset1:216
	;; [unrolled: 3-line block ×5, first 2 shown]
	v_add_u32_e32 v4, 0x2c00, v8
	s_movk_i32 s2, 0x88
	v_mad_u32_u24 v6, v6, s2, 0
	s_mov_b32 s10, 0xbeb8f4ab
	s_mov_b32 s8, 0x3f6eb680
	;; [unrolled: 1-line block ×22, first 2 shown]
	s_mul_i32 s0, s0, s7
	s_lshl_b64 s[0:1], s[0:1], 3
	s_waitcnt vmcnt(3)
	ds_write2_b64 v4, v[40:41], v[42:43] offset0:32 offset1:152
	v_add_u32_e32 v4, 0x3400, v8
	s_waitcnt vmcnt(1)
	ds_write2_b64 v4, v[44:45], v[46:47] offset0:16 offset1:136
	s_waitcnt vmcnt(0)
	ds_write_b64 v8, v[2:3] offset:15360
	s_waitcnt lgkmcnt(0)
	s_barrier
	ds_read2_b64 v[36:39], v6 offset0:8 offset1:9
	ds_read2_b64 v[12:15], v6 offset0:10 offset1:11
	ds_read2_b64 v[16:19], v6 offset0:12 offset1:13
	ds_read2_b64 v[20:23], v6 offset0:14 offset1:15
	ds_read2_b64 v[2:5], v6 offset1:1
	ds_read2_b64 v[24:27], v6 offset0:2 offset1:3
	ds_read2_b64 v[28:31], v6 offset0:6 offset1:7
	ds_read2_b64 v[32:35], v6 offset0:4 offset1:5
	ds_read_b64 v[10:11], v6 offset:128
	s_waitcnt lgkmcnt(4)
	v_pk_add_f32 v[40:41], v[2:3], v[4:5]
	s_waitcnt lgkmcnt(3)
	v_pk_add_f32 v[90:91], v[24:25], v[22:23] neg_lo:[0,1] neg_hi:[0,1]
	v_pk_add_f32 v[40:41], v[40:41], v[24:25]
	v_pk_add_f32 v[84:85], v[22:23], v[24:25]
	v_pk_add_f32 v[40:41], v[40:41], v[26:27]
	s_waitcnt lgkmcnt(0)
	v_pk_add_f32 v[80:81], v[4:5], v[10:11] neg_lo:[0,1] neg_hi:[0,1]
	v_pk_add_f32 v[40:41], v[40:41], v[32:33]
	v_pk_add_f32 v[74:75], v[10:11], v[4:5]
	;; [unrolled: 1-line block ×3, first 2 shown]
	v_pk_add_f32 v[98:99], v[26:27], v[20:21] neg_lo:[0,1] neg_hi:[0,1]
	v_pk_add_f32 v[40:41], v[40:41], v[28:29]
	v_pk_add_f32 v[92:93], v[20:21], v[26:27]
	;; [unrolled: 1-line block ×5, first 2 shown]
	v_pk_add_f32 v[106:107], v[32:33], v[18:19] neg_lo:[0,1] neg_hi:[0,1]
	v_pk_add_f32 v[40:41], v[40:41], v[38:39]
	v_pk_add_f32 v[112:113], v[16:17], v[34:35]
	;; [unrolled: 1-line block ×3, first 2 shown]
	v_pk_add_f32 v[118:119], v[34:35], v[16:17] neg_lo:[0,1] neg_hi:[0,1]
	v_pk_add_f32 v[40:41], v[40:41], v[14:15]
	v_pk_add_f32 v[124:125], v[14:15], v[28:29]
	;; [unrolled: 1-line block ×3, first 2 shown]
	v_pk_add_f32 v[126:127], v[28:29], v[14:15] neg_lo:[0,1] neg_hi:[0,1]
	v_pk_add_f32 v[40:41], v[40:41], v[18:19]
	v_pk_mul_f32 v[18:19], v[98:99], s[48:49] op_sel_hi:[1,0]
	v_pk_add_f32 v[40:41], v[40:41], v[20:21]
	v_pk_add_f32 v[128:129], v[12:13], v[30:31]
	;; [unrolled: 1-line block ×3, first 2 shown]
	v_pk_mul_f32 v[22:23], v[90:91], s[28:29] op_sel_hi:[1,0]
	v_pk_add_f32 v[40:41], v[40:41], v[10:11]
	v_pk_mul_f32 v[10:11], v[80:81], s[10:11] op_sel_hi:[1,0]
	v_pk_fma_f32 v[16:17], v[84:85], s[2:3], v[22:23] op_sel:[0,0,1] op_sel_hi:[1,0,0]
	v_pk_fma_f32 v[42:43], v[74:75], s[8:9], v[10:11] op_sel:[0,0,1] op_sel_hi:[1,0,0]
	v_pk_fma_f32 v[82:83], v[74:75], s[8:9], v[10:11] op_sel:[0,0,1] op_sel_hi:[1,0,0] neg_lo:[0,0,1] neg_hi:[0,0,1]
	v_accvgpr_write_b32 a1, v43
	v_mov_b32_e32 v43, v83
	v_pk_fma_f32 v[46:47], v[84:85], s[2:3], v[22:23] op_sel:[0,0,1] op_sel_hi:[1,0,0] neg_lo:[0,0,1] neg_hi:[0,0,1]
	v_pk_add_f32 v[42:43], v[2:3], v[42:43]
	v_accvgpr_write_b32 a3, v17
	v_mov_b32_e32 v17, v47
	v_pk_fma_f32 v[22:23], v[92:93], s[16:17], v[18:19] op_sel:[0,0,1] op_sel_hi:[1,0,0]
	v_pk_fma_f32 v[18:19], v[92:93], s[16:17], v[18:19] op_sel:[0,0,1] op_sel_hi:[1,0,0] neg_lo:[0,0,1] neg_hi:[0,0,1]
	v_pk_add_f32 v[20:21], v[16:17], v[42:43]
	v_accvgpr_write_b32 a5, v23
	v_mov_b32_e32 v23, v19
	v_pk_add_f32 v[24:25], v[22:23], v[20:21]
	v_pk_mul_f32 v[22:23], v[106:107], s[40:41] op_sel_hi:[1,0]
	v_pk_add_f32 v[130:131], v[30:31], v[12:13] neg_lo:[0,1] neg_hi:[0,1]
	v_pk_fma_f32 v[26:27], v[100:101], s[14:15], v[22:23] op_sel:[0,0,1] op_sel_hi:[1,0,0]
	v_pk_fma_f32 v[22:23], v[100:101], s[14:15], v[22:23] op_sel:[0,0,1] op_sel_hi:[1,0,0] neg_lo:[0,0,1] neg_hi:[0,0,1]
	v_accvgpr_write_b32 a7, v27
	v_mov_b32_e32 v27, v23
	v_pk_add_f32 v[28:29], v[26:27], v[24:25]
	v_pk_mul_f32 v[26:27], v[118:119], s[22:23] op_sel_hi:[1,0]
	v_pk_add_f32 v[134:135], v[36:37], v[38:39] neg_lo:[0,1] neg_hi:[0,1]
	v_pk_fma_f32 v[30:31], v[112:113], s[20:21], v[26:27] op_sel:[0,0,1] op_sel_hi:[1,0,0]
	v_pk_fma_f32 v[26:27], v[112:113], s[20:21], v[26:27] op_sel:[0,0,1] op_sel_hi:[1,0,0] neg_lo:[0,0,1] neg_hi:[0,0,1]
	v_accvgpr_write_b32 a9, v31
	v_mov_b32_e32 v31, v27
	v_pk_add_f32 v[32:33], v[30:31], v[28:29]
	v_pk_mul_f32 v[30:31], v[126:127], s[26:27] op_sel_hi:[1,0]
	v_pk_add_f32 v[132:133], v[38:39], v[36:37]
	v_pk_fma_f32 v[34:35], v[124:125], s[24:25], v[30:31] op_sel:[0,0,1] op_sel_hi:[1,0,0]
	v_pk_fma_f32 v[30:31], v[124:125], s[24:25], v[30:31] op_sel:[0,0,1] op_sel_hi:[1,0,0] neg_lo:[0,0,1] neg_hi:[0,0,1]
	v_accvgpr_write_b32 a11, v35
	v_mov_b32_e32 v35, v31
	v_pk_add_f32 v[42:43], v[34:35], v[32:33]
	v_pk_mul_f32 v[34:35], v[130:131], s[34:35] op_sel_hi:[1,0]
	v_pk_mul_f32 v[38:39], v[134:135], s[38:39] op_sel_hi:[1,0]
	v_pk_fma_f32 v[32:33], v[128:129], s[30:31], v[34:35] op_sel:[0,0,1] op_sel_hi:[1,0,0]
	v_pk_fma_f32 v[34:35], v[128:129], s[30:31], v[34:35] op_sel:[0,0,1] op_sel_hi:[1,0,0] neg_lo:[0,0,1] neg_hi:[0,0,1]
	v_mov_b32_e32 v44, v32
	v_mov_b32_e32 v45, v35
	v_pk_fma_f32 v[36:37], v[132:133], s[36:37], v[38:39] op_sel:[0,0,1] op_sel_hi:[1,0,0]
	v_pk_fma_f32 v[38:39], v[132:133], s[36:37], v[38:39] op_sel:[0,0,1] op_sel_hi:[1,0,0] neg_lo:[0,0,1] neg_hi:[0,0,1]
	v_pk_add_f32 v[42:43], v[44:45], v[42:43]
	v_mov_b32_e32 v44, v36
	v_mov_b32_e32 v45, v39
	v_pk_add_f32 v[42:43], v[44:45], v[42:43]
	s_barrier
	ds_write2_b64 v6, v[40:41], v[42:43] offset1:1
	v_pk_mul_f32 v[40:41], v[80:81], s[28:29] op_sel_hi:[1,0]
	v_pk_mul_f32 v[206:207], v[90:91], s[50:51] op_sel_hi:[1,0]
	v_pk_fma_f32 v[42:43], v[74:75], s[2:3], v[40:41] op_sel:[0,0,1] op_sel_hi:[1,0,0]
	v_pk_fma_f32 v[40:41], v[74:75], s[2:3], v[40:41] op_sel:[0,0,1] op_sel_hi:[1,0,0] neg_lo:[0,0,1] neg_hi:[0,0,1]
	v_mov_b32_e32 v44, v42
	v_mov_b32_e32 v45, v41
	v_pk_add_f32 v[48:49], v[2:3], v[44:45]
	v_pk_mul_f32 v[44:45], v[90:91], s[40:41] op_sel_hi:[1,0]
	v_pk_fma_f32 v[208:209], v[84:85], s[20:21], v[206:207] op_sel:[0,0,1] op_sel_hi:[1,0,0]
	v_pk_fma_f32 v[28:29], v[84:85], s[14:15], v[44:45] op_sel:[0,0,1] op_sel_hi:[1,0,0]
	v_pk_fma_f32 v[44:45], v[84:85], s[14:15], v[44:45] op_sel:[0,0,1] op_sel_hi:[1,0,0] neg_lo:[0,0,1] neg_hi:[0,0,1]
	v_mov_b32_e32 v50, v28
	v_mov_b32_e32 v51, v45
	v_pk_add_f32 v[52:53], v[50:51], v[48:49]
	v_pk_mul_f32 v[50:51], v[98:99], s[26:27] op_sel_hi:[1,0]
	v_pk_fma_f32 v[206:207], v[84:85], s[20:21], v[206:207] op_sel:[0,0,1] op_sel_hi:[1,0,0] neg_lo:[0,0,1] neg_hi:[0,0,1]
	v_pk_fma_f32 v[48:49], v[92:93], s[24:25], v[50:51] op_sel:[0,0,1] op_sel_hi:[1,0,0]
	v_pk_fma_f32 v[50:51], v[92:93], s[24:25], v[50:51] op_sel:[0,0,1] op_sel_hi:[1,0,0] neg_lo:[0,0,1] neg_hi:[0,0,1]
	v_mov_b32_e32 v54, v48
	v_mov_b32_e32 v55, v51
	v_pk_add_f32 v[56:57], v[54:55], v[52:53]
	v_pk_mul_f32 v[54:55], v[106:107], s[38:39] op_sel_hi:[1,0]
	v_mov_b32_e32 v210, v208
	v_pk_fma_f32 v[52:53], v[100:101], s[36:37], v[54:55] op_sel:[0,0,1] op_sel_hi:[1,0,0]
	v_pk_fma_f32 v[54:55], v[100:101], s[36:37], v[54:55] op_sel:[0,0,1] op_sel_hi:[1,0,0] neg_lo:[0,0,1] neg_hi:[0,0,1]
	v_mov_b32_e32 v58, v52
	v_mov_b32_e32 v59, v55
	v_pk_add_f32 v[56:57], v[58:59], v[56:57]
	v_pk_mul_f32 v[58:59], v[118:119], s[52:53] op_sel_hi:[1,0]
	v_mov_b32_e32 v211, v207
	v_pk_fma_f32 v[24:25], v[112:113], s[30:31], v[58:59] op_sel:[0,0,1] op_sel_hi:[1,0,0]
	v_pk_fma_f32 v[62:63], v[112:113], s[30:31], v[58:59] op_sel:[0,0,1] op_sel_hi:[1,0,0] neg_lo:[0,0,1] neg_hi:[0,0,1]
	v_mov_b32_e32 v58, v24
	v_mov_b32_e32 v59, v63
	v_pk_add_f32 v[64:65], v[58:59], v[56:57]
	v_pk_mul_f32 v[58:59], v[126:127], s[50:51] op_sel_hi:[1,0]
	v_pk_mul_f32 v[240:241], v[90:91], s[42:43] op_sel_hi:[1,0]
	v_pk_fma_f32 v[56:57], v[124:125], s[20:21], v[58:59] op_sel:[0,0,1] op_sel_hi:[1,0,0]
	v_pk_fma_f32 v[58:59], v[124:125], s[20:21], v[58:59] op_sel:[0,0,1] op_sel_hi:[1,0,0] neg_lo:[0,0,1] neg_hi:[0,0,1]
	v_mov_b32_e32 v66, v56
	v_mov_b32_e32 v67, v59
	v_pk_add_f32 v[68:69], v[66:67], v[64:65]
	v_pk_mul_f32 v[66:67], v[130:131], s[42:43] op_sel_hi:[1,0]
	v_pk_fma_f32 v[242:243], v[84:85], s[16:17], v[240:241] op_sel:[0,0,1] op_sel_hi:[1,0,0]
	v_pk_fma_f32 v[64:65], v[128:129], s[16:17], v[66:67] op_sel:[0,0,1] op_sel_hi:[1,0,0]
	v_pk_fma_f32 v[66:67], v[128:129], s[16:17], v[66:67] op_sel:[0,0,1] op_sel_hi:[1,0,0] neg_lo:[0,0,1] neg_hi:[0,0,1]
	v_mov_b32_e32 v70, v64
	v_mov_b32_e32 v71, v67
	v_pk_add_f32 v[72:73], v[70:71], v[68:69]
	v_pk_mul_f32 v[70:71], v[134:135], s[44:45] op_sel_hi:[1,0]
	v_pk_fma_f32 v[240:241], v[84:85], s[16:17], v[240:241] op_sel:[0,0,1] op_sel_hi:[1,0,0] neg_lo:[0,0,1] neg_hi:[0,0,1]
	v_pk_fma_f32 v[68:69], v[132:133], s[8:9], v[70:71] op_sel:[0,0,1] op_sel_hi:[1,0,0]
	v_pk_fma_f32 v[70:71], v[132:133], s[8:9], v[70:71] op_sel:[0,0,1] op_sel_hi:[1,0,0] neg_lo:[0,0,1] neg_hi:[0,0,1]
	v_mov_b32_e32 v76, v68
	v_mov_b32_e32 v77, v71
	v_pk_add_f32 v[136:137], v[76:77], v[72:73]
	v_pk_mul_f32 v[72:73], v[80:81], s[48:49] op_sel_hi:[1,0]
	v_mov_b32_e32 v244, v242
	v_pk_fma_f32 v[76:77], v[74:75], s[16:17], v[72:73] op_sel:[0,0,1] op_sel_hi:[1,0,0]
	v_pk_fma_f32 v[72:73], v[74:75], s[16:17], v[72:73] op_sel:[0,0,1] op_sel_hi:[1,0,0] neg_lo:[0,0,1] neg_hi:[0,0,1]
	v_mov_b32_e32 v78, v76
	v_mov_b32_e32 v79, v73
	v_pk_add_f32 v[86:87], v[2:3], v[78:79]
	v_pk_mul_f32 v[78:79], v[90:91], s[26:27] op_sel_hi:[1,0]
	v_mov_b32_e32 v245, v241
	v_pk_fma_f32 v[20:21], v[84:85], s[24:25], v[78:79] op_sel:[0,0,1] op_sel_hi:[1,0,0]
	v_pk_fma_f32 v[78:79], v[84:85], s[24:25], v[78:79] op_sel:[0,0,1] op_sel_hi:[1,0,0] neg_lo:[0,0,1] neg_hi:[0,0,1]
	v_mov_b32_e32 v88, v20
	v_mov_b32_e32 v89, v79
	v_pk_add_f32 v[94:95], v[88:89], v[86:87]
	v_pk_mul_f32 v[88:89], v[98:99], s[46:47] op_sel_hi:[1,0]
	s_mov_b32 s46, 0x3f2c7751
	v_pk_fma_f32 v[86:87], v[92:93], s[36:37], v[88:89] op_sel:[0,0,1] op_sel_hi:[1,0,0]
	v_pk_fma_f32 v[88:89], v[92:93], s[36:37], v[88:89] op_sel:[0,0,1] op_sel_hi:[1,0,0] neg_lo:[0,0,1] neg_hi:[0,0,1]
	v_mov_b32_e32 v96, v86
	v_mov_b32_e32 v97, v89
	v_pk_add_f32 v[102:103], v[96:97], v[94:95]
	v_pk_mul_f32 v[96:97], v[106:107], s[50:51] op_sel_hi:[1,0]
	v_mov_b32_e32 v241, v243
	v_pk_fma_f32 v[94:95], v[100:101], s[20:21], v[96:97] op_sel:[0,0,1] op_sel_hi:[1,0,0]
	v_pk_fma_f32 v[96:97], v[100:101], s[20:21], v[96:97] op_sel:[0,0,1] op_sel_hi:[1,0,0] neg_lo:[0,0,1] neg_hi:[0,0,1]
	v_mov_b32_e32 v104, v94
	v_mov_b32_e32 v105, v97
	v_pk_add_f32 v[108:109], v[104:105], v[102:103]
	v_pk_mul_f32 v[104:105], v[118:119], s[46:47] op_sel_hi:[1,0]
	v_mov_b32_e32 v207, v209
	;; [unrolled: 7-line block ×4, first 2 shown]
	v_pk_fma_f32 v[114:115], v[128:129], s[14:15], v[116:117] op_sel:[0,0,1] op_sel_hi:[1,0,0]
	v_pk_fma_f32 v[116:117], v[128:129], s[14:15], v[116:117] op_sel:[0,0,1] op_sel_hi:[1,0,0] neg_lo:[0,0,1] neg_hi:[0,0,1]
	v_mov_b32_e32 v122, v114
	v_mov_b32_e32 v123, v117
	v_pk_add_f32 v[138:139], v[122:123], v[120:121]
	v_pk_mul_f32 v[122:123], v[134:135], s[34:35] op_sel_hi:[1,0]
	v_accvgpr_read_b32 v83, a1
	v_pk_fma_f32 v[120:121], v[132:133], s[30:31], v[122:123] op_sel:[0,0,1] op_sel_hi:[1,0,0]
	v_pk_fma_f32 v[122:123], v[132:133], s[30:31], v[122:123] op_sel:[0,0,1] op_sel_hi:[1,0,0] neg_lo:[0,0,1] neg_hi:[0,0,1]
	v_mov_b32_e32 v140, v120
	v_mov_b32_e32 v141, v123
	v_pk_add_f32 v[138:139], v[140:141], v[138:139]
	ds_write2_b64 v6, v[136:137], v[138:139] offset0:2 offset1:3
	v_pk_mul_f32 v[136:137], v[80:81], s[40:41] op_sel_hi:[1,0]
	v_accvgpr_read_b32 v47, a3
	v_pk_fma_f32 v[138:139], v[74:75], s[14:15], v[136:137] op_sel:[0,0,1] op_sel_hi:[1,0,0]
	v_pk_fma_f32 v[136:137], v[74:75], s[14:15], v[136:137] op_sel:[0,0,1] op_sel_hi:[1,0,0] neg_lo:[0,0,1] neg_hi:[0,0,1]
	v_mov_b32_e32 v140, v138
	v_mov_b32_e32 v141, v137
	v_pk_add_f32 v[144:145], v[2:3], v[140:141]
	v_pk_mul_f32 v[140:141], v[90:91], s[38:39] op_sel_hi:[1,0]
	v_mov_b32_e32 v137, v139
	v_pk_fma_f32 v[142:143], v[84:85], s[36:37], v[140:141] op_sel:[0,0,1] op_sel_hi:[1,0,0]
	v_pk_fma_f32 v[140:141], v[84:85], s[36:37], v[140:141] op_sel:[0,0,1] op_sel_hi:[1,0,0] neg_lo:[0,0,1] neg_hi:[0,0,1]
	v_mov_b32_e32 v146, v142
	v_mov_b32_e32 v147, v141
	v_pk_add_f32 v[148:149], v[146:147], v[144:145]
	v_pk_mul_f32 v[146:147], v[98:99], s[50:51] op_sel_hi:[1,0]
	v_mov_b32_e32 v141, v143
	;; [unrolled: 7-line block ×10, first 2 shown]
	v_pk_fma_f32 v[176:177], v[92:93], s[2:3], v[178:179] op_sel:[0,0,1] op_sel_hi:[1,0,0]
	v_pk_fma_f32 v[178:179], v[92:93], s[2:3], v[178:179] op_sel:[0,0,1] op_sel_hi:[1,0,0] neg_lo:[0,0,1] neg_hi:[0,0,1]
	v_mov_b32_e32 v182, v176
	v_mov_b32_e32 v183, v179
	v_pk_add_f32 v[184:185], v[182:183], v[180:181]
	v_pk_mul_f32 v[182:183], v[106:107], s[48:49] op_sel_hi:[1,0]
	s_mov_b32 s48, 0x3f7ee86f
	v_pk_fma_f32 v[180:181], v[100:101], s[16:17], v[182:183] op_sel:[0,0,1] op_sel_hi:[1,0,0]
	v_pk_fma_f32 v[182:183], v[100:101], s[16:17], v[182:183] op_sel:[0,0,1] op_sel_hi:[1,0,0] neg_lo:[0,0,1] neg_hi:[0,0,1]
	v_mov_b32_e32 v186, v180
	v_mov_b32_e32 v187, v183
	v_pk_add_f32 v[188:189], v[186:187], v[184:185]
	v_pk_mul_f32 v[186:187], v[118:119], s[38:39] op_sel_hi:[1,0]
	v_mov_b32_e32 v179, v177
	v_pk_fma_f32 v[184:185], v[112:113], s[36:37], v[186:187] op_sel:[0,0,1] op_sel_hi:[1,0,0]
	v_pk_fma_f32 v[186:187], v[112:113], s[36:37], v[186:187] op_sel:[0,0,1] op_sel_hi:[1,0,0] neg_lo:[0,0,1] neg_hi:[0,0,1]
	v_mov_b32_e32 v190, v184
	v_mov_b32_e32 v191, v187
	v_pk_add_f32 v[192:193], v[190:191], v[188:189]
	v_pk_mul_f32 v[190:191], v[126:127], s[48:49] op_sel_hi:[1,0]
	v_mov_b32_e32 v183, v181
	;; [unrolled: 7-line block ×4, first 2 shown]
	v_pk_fma_f32 v[196:197], v[132:133], s[24:25], v[198:199] op_sel:[0,0,1] op_sel_hi:[1,0,0]
	v_pk_fma_f32 v[198:199], v[132:133], s[24:25], v[198:199] op_sel:[0,0,1] op_sel_hi:[1,0,0] neg_lo:[0,0,1] neg_hi:[0,0,1]
	v_mov_b32_e32 v204, v196
	v_mov_b32_e32 v205, v199
	v_pk_add_f32 v[202:203], v[204:205], v[202:203]
	ds_write2_b64 v6, v[200:201], v[202:203] offset0:4 offset1:5
	v_pk_mul_f32 v[200:201], v[80:81], s[26:27] op_sel_hi:[1,0]
	v_mov_b32_e32 v195, v193
	v_pk_fma_f32 v[202:203], v[74:75], s[24:25], v[200:201] op_sel:[0,0,1] op_sel_hi:[1,0,0]
	v_pk_fma_f32 v[200:201], v[74:75], s[24:25], v[200:201] op_sel:[0,0,1] op_sel_hi:[1,0,0] neg_lo:[0,0,1] neg_hi:[0,0,1]
	v_mov_b32_e32 v204, v202
	v_mov_b32_e32 v205, v201
	v_pk_add_f32 v[204:205], v[2:3], v[204:205]
	v_mov_b32_e32 v201, v203
	v_pk_add_f32 v[204:205], v[210:211], v[204:205]
	v_pk_mul_f32 v[210:211], v[98:99], s[10:11] op_sel_hi:[1,0]
	v_mov_b32_e32 v199, v197
	v_pk_fma_f32 v[212:213], v[92:93], s[8:9], v[210:211] op_sel:[0,0,1] op_sel_hi:[1,0,0]
	v_pk_fma_f32 v[210:211], v[92:93], s[8:9], v[210:211] op_sel:[0,0,1] op_sel_hi:[1,0,0] neg_lo:[0,0,1] neg_hi:[0,0,1]
	v_mov_b32_e32 v214, v212
	v_mov_b32_e32 v215, v211
	v_pk_add_f32 v[204:205], v[214:215], v[204:205]
	v_pk_mul_f32 v[214:215], v[106:107], s[34:35] op_sel_hi:[1,0]
	v_mov_b32_e32 v211, v213
	v_pk_fma_f32 v[216:217], v[100:101], s[30:31], v[214:215] op_sel:[0,0,1] op_sel_hi:[1,0,0]
	v_pk_fma_f32 v[214:215], v[100:101], s[30:31], v[214:215] op_sel:[0,0,1] op_sel_hi:[1,0,0] neg_lo:[0,0,1] neg_hi:[0,0,1]
	v_mov_b32_e32 v218, v216
	;; [unrolled: 7-line block ×7, first 2 shown]
	v_mov_b32_e32 v239, v235
	v_pk_add_f32 v[238:239], v[2:3], v[238:239]
	v_mov_b32_e32 v235, v237
	v_pk_add_f32 v[238:239], v[244:245], v[238:239]
	v_pk_mul_f32 v[244:245], v[98:99], s[40:41] op_sel_hi:[1,0]
	v_accvgpr_read_b32 v19, a5
	v_pk_fma_f32 v[246:247], v[92:93], s[14:15], v[244:245] op_sel:[0,0,1] op_sel_hi:[1,0,0]
	v_pk_fma_f32 v[244:245], v[92:93], s[14:15], v[244:245] op_sel:[0,0,1] op_sel_hi:[1,0,0] neg_lo:[0,0,1] neg_hi:[0,0,1]
	v_mov_b32_e32 v248, v246
	v_mov_b32_e32 v249, v245
	v_pk_add_f32 v[238:239], v[248:249], v[238:239]
	v_pk_mul_f32 v[248:249], v[106:107], s[54:55] op_sel_hi:[1,0]
	v_mov_b32_e32 v245, v247
	v_pk_fma_f32 v[250:251], v[100:101], s[24:25], v[248:249] op_sel:[0,0,1] op_sel_hi:[1,0,0]
	v_pk_fma_f32 v[248:249], v[100:101], s[24:25], v[248:249] op_sel:[0,0,1] op_sel_hi:[1,0,0] neg_lo:[0,0,1] neg_hi:[0,0,1]
	v_mov_b32_e32 v252, v250
	v_mov_b32_e32 v253, v249
	v_pk_add_f32 v[238:239], v[252:253], v[238:239]
	v_pk_mul_f32 v[252:253], v[118:119], s[10:11] op_sel_hi:[1,0]
	v_mov_b32_e32 v249, v251
	;; [unrolled: 7-line block ×5, first 2 shown]
	v_pk_fma_f32 v[12:13], v[132:133], s[20:21], v[8:9] op_sel:[0,0,1] op_sel_hi:[1,0,0]
	v_pk_fma_f32 v[8:9], v[132:133], s[20:21], v[8:9] op_sel:[0,0,1] op_sel_hi:[1,0,0] neg_lo:[0,0,1] neg_hi:[0,0,1]
	v_mov_b32_e32 v10, v12
	v_mov_b32_e32 v11, v9
	v_pk_add_f32 v[4:5], v[10:11], v[4:5]
	ds_write2_b64 v6, v[204:205], v[4:5] offset0:6 offset1:7
	v_pk_mul_f32 v[4:5], v[80:81], s[38:39] op_sel_hi:[1,0]
	v_mov_b32_e32 v9, v13
	v_pk_fma_f32 v[10:11], v[74:75], s[36:37], v[4:5] op_sel:[0,0,1] op_sel_hi:[1,0,0]
	v_pk_fma_f32 v[4:5], v[74:75], s[36:37], v[4:5] op_sel:[0,0,1] op_sel_hi:[1,0,0] neg_lo:[0,0,1] neg_hi:[0,0,1]
	v_pk_mul_f32 v[74:75], v[90:91], s[44:45] op_sel_hi:[1,0]
	v_accvgpr_read_b32 v23, a7
	v_pk_fma_f32 v[80:81], v[84:85], s[8:9], v[74:75] op_sel:[0,0,1] op_sel_hi:[1,0,0]
	v_pk_fma_f32 v[74:75], v[84:85], s[8:9], v[74:75] op_sel:[0,0,1] op_sel_hi:[1,0,0] neg_lo:[0,0,1] neg_hi:[0,0,1]
	v_mov_b32_e32 v84, v10
	v_mov_b32_e32 v85, v5
	v_pk_add_f32 v[84:85], v[2:3], v[84:85]
	v_mov_b32_e32 v90, v80
	v_mov_b32_e32 v91, v75
	v_pk_add_f32 v[84:85], v[90:91], v[84:85]
	v_pk_mul_f32 v[90:91], v[98:99], s[34:35] op_sel_hi:[1,0]
	v_mov_b32_e32 v5, v11
	v_pk_fma_f32 v[98:99], v[92:93], s[30:31], v[90:91] op_sel:[0,0,1] op_sel_hi:[1,0,0]
	v_pk_fma_f32 v[90:91], v[92:93], s[30:31], v[90:91] op_sel:[0,0,1] op_sel_hi:[1,0,0] neg_lo:[0,0,1] neg_hi:[0,0,1]
	v_mov_b32_e32 v92, v98
	v_mov_b32_e32 v93, v91
	v_pk_add_f32 v[84:85], v[92:93], v[84:85]
	v_pk_mul_f32 v[92:93], v[106:107], s[46:47] op_sel_hi:[1,0]
	v_mov_b32_e32 v75, v81
	v_pk_fma_f32 v[106:107], v[100:101], s[2:3], v[92:93] op_sel:[0,0,1] op_sel_hi:[1,0,0]
	v_pk_fma_f32 v[92:93], v[100:101], s[2:3], v[92:93] op_sel:[0,0,1] op_sel_hi:[1,0,0] neg_lo:[0,0,1] neg_hi:[0,0,1]
	v_mov_b32_e32 v100, v106
	v_mov_b32_e32 v101, v93
	v_pk_add_f32 v[84:85], v[100:101], v[84:85]
	v_pk_mul_f32 v[100:101], v[118:119], s[26:27] op_sel_hi:[1,0]
	v_pk_add_f32 v[4:5], v[2:3], v[4:5]
	v_pk_fma_f32 v[118:119], v[112:113], s[24:25], v[100:101] op_sel:[0,0,1] op_sel_hi:[1,0,0]
	v_pk_fma_f32 v[100:101], v[112:113], s[24:25], v[100:101] op_sel:[0,0,1] op_sel_hi:[1,0,0] neg_lo:[0,0,1] neg_hi:[0,0,1]
	v_mov_b32_e32 v112, v118
	v_mov_b32_e32 v113, v101
	v_pk_add_f32 v[84:85], v[112:113], v[84:85]
	v_pk_mul_f32 v[112:113], v[126:127], s[42:43] op_sel_hi:[1,0]
	v_pk_add_f32 v[4:5], v[74:75], v[4:5]
	v_pk_fma_f32 v[126:127], v[124:125], s[16:17], v[112:113] op_sel:[0,0,1] op_sel_hi:[1,0,0]
	v_pk_fma_f32 v[112:113], v[124:125], s[16:17], v[112:113] op_sel:[0,0,1] op_sel_hi:[1,0,0] neg_lo:[0,0,1] neg_hi:[0,0,1]
	v_mov_b32_e32 v124, v126
	v_mov_b32_e32 v125, v113
	v_pk_add_f32 v[84:85], v[124:125], v[84:85]
	v_pk_mul_f32 v[124:125], v[130:131], s[22:23] op_sel_hi:[1,0]
	v_mov_b32_e32 v91, v99
	v_pk_fma_f32 v[130:131], v[128:129], s[20:21], v[124:125] op_sel:[0,0,1] op_sel_hi:[1,0,0]
	v_pk_fma_f32 v[124:125], v[128:129], s[20:21], v[124:125] op_sel:[0,0,1] op_sel_hi:[1,0,0] neg_lo:[0,0,1] neg_hi:[0,0,1]
	v_pk_add_f32 v[4:5], v[90:91], v[4:5]
	v_mov_b32_e32 v93, v107
	v_mov_b32_e32 v128, v130
	v_mov_b32_e32 v129, v125
	v_pk_add_f32 v[4:5], v[92:93], v[4:5]
	v_mov_b32_e32 v101, v119
	v_pk_add_f32 v[84:85], v[128:129], v[84:85]
	v_pk_mul_f32 v[128:129], v[134:135], s[48:49] op_sel_hi:[1,0]
	v_pk_add_f32 v[4:5], v[100:101], v[4:5]
	v_mov_b32_e32 v113, v127
	v_pk_fma_f32 v[134:135], v[132:133], s[14:15], v[128:129] op_sel:[0,0,1] op_sel_hi:[1,0,0]
	v_pk_fma_f32 v[128:129], v[132:133], s[14:15], v[128:129] op_sel:[0,0,1] op_sel_hi:[1,0,0] neg_lo:[0,0,1] neg_hi:[0,0,1]
	v_pk_add_f32 v[4:5], v[112:113], v[4:5]
	v_mov_b32_e32 v125, v131
	v_mov_b32_e32 v132, v134
	;; [unrolled: 1-line block ×3, first 2 shown]
	v_pk_add_f32 v[4:5], v[124:125], v[4:5]
	v_mov_b32_e32 v129, v135
	v_pk_add_f32 v[84:85], v[132:133], v[84:85]
	v_pk_add_f32 v[4:5], v[128:129], v[4:5]
	ds_write2_b64 v6, v[84:85], v[4:5] offset0:8 offset1:9
	v_pk_add_f32 v[4:5], v[2:3], v[234:235]
	v_mov_b32_e32 v79, v21
	v_pk_add_f32 v[4:5], v[240:241], v[4:5]
	v_mov_b32_e32 v45, v29
	v_pk_add_f32 v[4:5], v[244:245], v[4:5]
	v_accvgpr_read_b32 v27, a9
	v_pk_add_f32 v[4:5], v[248:249], v[4:5]
	v_mov_b32_e32 v89, v87
	v_pk_add_f32 v[4:5], v[252:253], v[4:5]
	v_mov_b32_e32 v51, v49
	v_pk_add_f32 v[4:5], v[254:255], v[4:5]
	v_accvgpr_read_b32 v31, a11
	v_pk_add_f32 v[4:5], v[238:239], v[4:5]
	v_mov_b32_e32 v97, v95
	v_pk_add_f32 v[4:5], v[8:9], v[4:5]
	v_pk_add_f32 v[8:9], v[2:3], v[200:201]
	v_mov_b32_e32 v55, v53
	v_pk_add_f32 v[8:9], v[206:207], v[8:9]
	v_mov_b32_e32 v35, v33
	;; [unrolled: 2-line block ×4, first 2 shown]
	v_pk_add_f32 v[8:9], v[218:219], v[8:9]
	v_mul_lo_u32 v10, s5, v1
	v_pk_add_f32 v[8:9], v[222:223], v[8:9]
	v_mul_hi_u32 v11, s4, v1
	v_pk_add_f32 v[8:9], v[226:227], v[8:9]
	v_mov_b32_e32 v39, v37
	v_pk_add_f32 v[8:9], v[230:231], v[8:9]
	ds_write2_b64 v6, v[4:5], v[8:9] offset0:10 offset1:11
	v_pk_add_f32 v[4:5], v[2:3], v[168:169]
	v_pk_add_f32 v[8:9], v[2:3], v[136:137]
	;; [unrolled: 1-line block ×16, first 2 shown]
	ds_write2_b64 v6, v[4:5], v[8:9] offset0:12 offset1:13
	v_pk_add_f32 v[4:5], v[2:3], v[72:73]
	v_pk_add_f32 v[8:9], v[2:3], v[40:41]
	;; [unrolled: 1-line block ×16, first 2 shown]
	v_mov_b32_e32 v111, v109
	v_pk_add_f32 v[8:9], v[62:63], v[8:9]
	v_add_u32_e32 v11, v11, v10
	v_mul_lo_u32 v10, s4, v1
	v_mov_b32_e32 v59, v57
	v_pk_add_f32 v[2:3], v[38:39], v[2:3]
	v_mul_u32_u24_e32 v1, 0x223, v0
	v_pk_add_f32 v[4:5], v[110:111], v[4:5]
	v_mov_b32_e32 v117, v115
	v_pk_add_f32 v[8:9], v[58:59], v[8:9]
	v_mov_b32_e32 v67, v65
	ds_write_b64 v6, v[2:3] offset:128
	v_lshrrev_b32_e32 v2, 16, v1
	v_pk_add_f32 v[4:5], v[116:117], v[4:5]
	v_mov_b32_e32 v123, v121
	v_pk_add_f32 v[8:9], v[66:67], v[8:9]
	v_mov_b32_e32 v71, v69
	v_mul_lo_u16_e32 v1, 0x78, v2
	v_pk_add_f32 v[4:5], v[122:123], v[4:5]
	v_pk_add_f32 v[8:9], v[70:71], v[8:9]
	v_sub_u16_e32 v3, v0, v1
	ds_write2_b64 v6, v[4:5], v[8:9] offset0:14 offset1:15
	v_mad_u64_u32 v[4:5], s[2:3], s4, v3, 0
	v_mov_b32_e32 v0, v5
	v_mad_u64_u32 v[0:1], s[2:3], s5, v3, v[0:1]
	v_accvgpr_read_b32 v12, a0
	v_mov_b32_e32 v5, v0
	v_mul_lo_u16_e32 v0, 17, v3
	v_mul_lo_u32 v12, v12, s18
	v_mov_b32_e32 v13, v7
	v_lshlrev_b32_e32 v14, 3, v0
	v_lshlrev_b64 v[0:1], 3, v[10:11]
	v_mul_lo_u32 v6, s6, v2
	v_lshlrev_b32_e32 v15, 3, v2
	v_lshl_add_u64 v[0:1], s[12:13], 0, v[0:1]
	v_lshlrev_b64 v[2:3], 3, v[12:13]
	v_add3_u32 v16, 0, v14, v15
	v_lshl_add_u64 v[0:1], v[0:1], 0, v[2:3]
	s_waitcnt lgkmcnt(0)
	s_barrier
	v_lshl_add_u64 v[8:9], v[0:1], 0, s[0:1]
	ds_read2_b64 v[0:3], v16 offset1:1
	v_add3_u32 v14, 0, v15, v14
	v_lshl_add_u64 v[4:5], v[4:5], 3, v[8:9]
	ds_read2_b64 v[8:11], v14 offset0:2 offset1:3
	v_lshl_add_u64 v[12:13], v[6:7], 3, v[4:5]
	v_add_u32_e32 v6, s6, v6
	s_waitcnt lgkmcnt(1)
	global_store_dwordx2 v[12:13], v[0:1], off
	v_lshl_add_u64 v[0:1], v[6:7], 3, v[4:5]
	v_add_u32_e32 v6, s6, v6
	global_store_dwordx2 v[0:1], v[2:3], off
	v_lshl_add_u64 v[0:1], v[6:7], 3, v[4:5]
	s_waitcnt lgkmcnt(0)
	global_store_dwordx2 v[0:1], v[8:9], off
	v_add_u32_e32 v6, s6, v6
	ds_read2_b64 v[0:3], v14 offset0:4 offset1:5
	v_lshl_add_u64 v[8:9], v[6:7], 3, v[4:5]
	global_store_dwordx2 v[8:9], v[10:11], off
	ds_read2_b64 v[8:11], v14 offset0:6 offset1:7
	v_add_u32_e32 v6, s6, v6
	v_lshl_add_u64 v[12:13], v[6:7], 3, v[4:5]
	v_add_u32_e32 v6, s6, v6
	s_waitcnt lgkmcnt(1)
	global_store_dwordx2 v[12:13], v[0:1], off
	v_lshl_add_u64 v[0:1], v[6:7], 3, v[4:5]
	v_add_u32_e32 v6, s6, v6
	global_store_dwordx2 v[0:1], v[2:3], off
	v_lshl_add_u64 v[0:1], v[6:7], 3, v[4:5]
	s_waitcnt lgkmcnt(0)
	global_store_dwordx2 v[0:1], v[8:9], off
	v_add_u32_e32 v6, s6, v6
	ds_read2_b64 v[0:3], v14 offset0:8 offset1:9
	v_lshl_add_u64 v[8:9], v[6:7], 3, v[4:5]
	global_store_dwordx2 v[8:9], v[10:11], off
	ds_read2_b64 v[8:11], v14 offset0:10 offset1:11
	v_add_u32_e32 v6, s6, v6
	;; [unrolled: 16-line block ×3, first 2 shown]
	v_lshl_add_u64 v[12:13], v[6:7], 3, v[4:5]
	v_add_u32_e32 v6, s6, v6
	s_waitcnt lgkmcnt(1)
	global_store_dwordx2 v[12:13], v[0:1], off
	v_lshl_add_u64 v[0:1], v[6:7], 3, v[4:5]
	v_add_u32_e32 v6, s6, v6
	global_store_dwordx2 v[0:1], v[2:3], off
	v_lshl_add_u64 v[0:1], v[6:7], 3, v[4:5]
	s_waitcnt lgkmcnt(0)
	global_store_dwordx2 v[0:1], v[8:9], off
	ds_read_b64 v[0:1], v14 offset:128
	v_add_u32_e32 v6, s6, v6
	v_lshl_add_u64 v[2:3], v[6:7], 3, v[4:5]
	v_add_u32_e32 v6, s6, v6
	global_store_dwordx2 v[2:3], v[10:11], off
	v_lshl_add_u64 v[2:3], v[6:7], 3, v[4:5]
	s_waitcnt lgkmcnt(0)
	global_store_dwordx2 v[2:3], v[0:1], off
	s_endpgm
	.section	.rodata,"a",@progbits
	.p2align	6, 0x0
	.amdhsa_kernel fft_rtc_back_len17_factors_17_wgs_120_tpt_1_sp_op_CI_CI_sbrc_xy_z_aligned
		.amdhsa_group_segment_fixed_size 0
		.amdhsa_private_segment_fixed_size 0
		.amdhsa_kernarg_size 104
		.amdhsa_user_sgpr_count 2
		.amdhsa_user_sgpr_dispatch_ptr 0
		.amdhsa_user_sgpr_queue_ptr 0
		.amdhsa_user_sgpr_kernarg_segment_ptr 1
		.amdhsa_user_sgpr_dispatch_id 0
		.amdhsa_user_sgpr_kernarg_preload_length 0
		.amdhsa_user_sgpr_kernarg_preload_offset 0
		.amdhsa_user_sgpr_private_segment_size 0
		.amdhsa_uses_dynamic_stack 0
		.amdhsa_enable_private_segment 0
		.amdhsa_system_sgpr_workgroup_id_x 1
		.amdhsa_system_sgpr_workgroup_id_y 0
		.amdhsa_system_sgpr_workgroup_id_z 0
		.amdhsa_system_sgpr_workgroup_info 0
		.amdhsa_system_vgpr_workitem_id 0
		.amdhsa_next_free_vgpr 268
		.amdhsa_next_free_sgpr 56
		.amdhsa_accum_offset 256
		.amdhsa_reserve_vcc 1
		.amdhsa_float_round_mode_32 0
		.amdhsa_float_round_mode_16_64 0
		.amdhsa_float_denorm_mode_32 3
		.amdhsa_float_denorm_mode_16_64 3
		.amdhsa_dx10_clamp 1
		.amdhsa_ieee_mode 1
		.amdhsa_fp16_overflow 0
		.amdhsa_tg_split 0
		.amdhsa_exception_fp_ieee_invalid_op 0
		.amdhsa_exception_fp_denorm_src 0
		.amdhsa_exception_fp_ieee_div_zero 0
		.amdhsa_exception_fp_ieee_overflow 0
		.amdhsa_exception_fp_ieee_underflow 0
		.amdhsa_exception_fp_ieee_inexact 0
		.amdhsa_exception_int_div_zero 0
	.end_amdhsa_kernel
	.text
.Lfunc_end0:
	.size	fft_rtc_back_len17_factors_17_wgs_120_tpt_1_sp_op_CI_CI_sbrc_xy_z_aligned, .Lfunc_end0-fft_rtc_back_len17_factors_17_wgs_120_tpt_1_sp_op_CI_CI_sbrc_xy_z_aligned
                                        ; -- End function
	.section	.AMDGPU.csdata,"",@progbits
; Kernel info:
; codeLenInByte = 6876
; NumSgprs: 62
; NumVgprs: 256
; NumAgprs: 12
; TotalNumVgprs: 268
; ScratchSize: 0
; MemoryBound: 0
; FloatMode: 240
; IeeeMode: 1
; LDSByteSize: 0 bytes/workgroup (compile time only)
; SGPRBlocks: 7
; VGPRBlocks: 33
; NumSGPRsForWavesPerEU: 62
; NumVGPRsForWavesPerEU: 268
; AccumOffset: 256
; Occupancy: 1
; WaveLimiterHint : 1
; COMPUTE_PGM_RSRC2:SCRATCH_EN: 0
; COMPUTE_PGM_RSRC2:USER_SGPR: 2
; COMPUTE_PGM_RSRC2:TRAP_HANDLER: 0
; COMPUTE_PGM_RSRC2:TGID_X_EN: 1
; COMPUTE_PGM_RSRC2:TGID_Y_EN: 0
; COMPUTE_PGM_RSRC2:TGID_Z_EN: 0
; COMPUTE_PGM_RSRC2:TIDIG_COMP_CNT: 0
; COMPUTE_PGM_RSRC3_GFX90A:ACCUM_OFFSET: 63
; COMPUTE_PGM_RSRC3_GFX90A:TG_SPLIT: 0
	.text
	.p2alignl 6, 3212836864
	.fill 256, 4, 3212836864
	.type	__hip_cuid_39d9d03c99745bf1,@object ; @__hip_cuid_39d9d03c99745bf1
	.section	.bss,"aw",@nobits
	.globl	__hip_cuid_39d9d03c99745bf1
__hip_cuid_39d9d03c99745bf1:
	.byte	0                               ; 0x0
	.size	__hip_cuid_39d9d03c99745bf1, 1

	.ident	"AMD clang version 19.0.0git (https://github.com/RadeonOpenCompute/llvm-project roc-6.4.0 25133 c7fe45cf4b819c5991fe208aaa96edf142730f1d)"
	.section	".note.GNU-stack","",@progbits
	.addrsig
	.addrsig_sym __hip_cuid_39d9d03c99745bf1
	.amdgpu_metadata
---
amdhsa.kernels:
  - .agpr_count:     12
    .args:
      - .actual_access:  read_only
        .address_space:  global
        .offset:         0
        .size:           8
        .value_kind:     global_buffer
      - .offset:         8
        .size:           8
        .value_kind:     by_value
      - .actual_access:  read_only
        .address_space:  global
        .offset:         16
        .size:           8
        .value_kind:     global_buffer
      - .actual_access:  read_only
        .address_space:  global
        .offset:         24
        .size:           8
        .value_kind:     global_buffer
      - .actual_access:  read_only
        .address_space:  global
        .offset:         32
        .size:           8
        .value_kind:     global_buffer
      - .offset:         40
        .size:           8
        .value_kind:     by_value
      - .actual_access:  read_only
        .address_space:  global
        .offset:         48
        .size:           8
        .value_kind:     global_buffer
      - .actual_access:  read_only
        .address_space:  global
        .offset:         56
        .size:           8
        .value_kind:     global_buffer
      - .offset:         64
        .size:           4
        .value_kind:     by_value
      - .actual_access:  read_only
        .address_space:  global
        .offset:         72
        .size:           8
        .value_kind:     global_buffer
      - .actual_access:  read_only
        .address_space:  global
        .offset:         80
        .size:           8
        .value_kind:     global_buffer
      - .actual_access:  read_only
        .address_space:  global
        .offset:         88
        .size:           8
        .value_kind:     global_buffer
      - .actual_access:  write_only
        .address_space:  global
        .offset:         96
        .size:           8
        .value_kind:     global_buffer
    .group_segment_fixed_size: 0
    .kernarg_segment_align: 8
    .kernarg_segment_size: 104
    .language:       OpenCL C
    .language_version:
      - 2
      - 0
    .max_flat_workgroup_size: 120
    .name:           fft_rtc_back_len17_factors_17_wgs_120_tpt_1_sp_op_CI_CI_sbrc_xy_z_aligned
    .private_segment_fixed_size: 0
    .sgpr_count:     62
    .sgpr_spill_count: 0
    .symbol:         fft_rtc_back_len17_factors_17_wgs_120_tpt_1_sp_op_CI_CI_sbrc_xy_z_aligned.kd
    .uniform_work_group_size: 1
    .uses_dynamic_stack: false
    .vgpr_count:     268
    .vgpr_spill_count: 0
    .wavefront_size: 64
amdhsa.target:   amdgcn-amd-amdhsa--gfx950
amdhsa.version:
  - 1
  - 2
...

	.end_amdgpu_metadata
